;; amdgpu-corpus repo=ROCm/rocFFT kind=compiled arch=gfx906 opt=O3
	.text
	.amdgcn_target "amdgcn-amd-amdhsa--gfx906"
	.amdhsa_code_object_version 6
	.protected	fft_rtc_back_len160_factors_4_10_4_wgs_192_tpt_16_sp_ip_CI_sbcc ; -- Begin function fft_rtc_back_len160_factors_4_10_4_wgs_192_tpt_16_sp_ip_CI_sbcc
	.globl	fft_rtc_back_len160_factors_4_10_4_wgs_192_tpt_16_sp_ip_CI_sbcc
	.p2align	8
	.type	fft_rtc_back_len160_factors_4_10_4_wgs_192_tpt_16_sp_ip_CI_sbcc,@function
fft_rtc_back_len160_factors_4_10_4_wgs_192_tpt_16_sp_ip_CI_sbcc: ; @fft_rtc_back_len160_factors_4_10_4_wgs_192_tpt_16_sp_ip_CI_sbcc
; %bb.0:
	s_load_dwordx4 s[0:3], s[4:5], 0x18
	s_mov_b32 s7, 0
	s_mov_b64 s[22:23], 0
	s_waitcnt lgkmcnt(0)
	s_load_dwordx2 s[16:17], s[0:1], 0x8
	s_waitcnt lgkmcnt(0)
	s_add_u32 s8, s16, -1
	s_addc_u32 s9, s17, -1
	s_add_u32 s10, 0, 0x55540000
	s_addc_u32 s11, 0, 0x55
	s_mul_hi_u32 s13, s10, -12
	s_add_i32 s11, s11, 0x15555500
	s_sub_i32 s13, s13, s10
	s_mul_i32 s18, s11, -12
	s_mul_i32 s12, s10, -12
	s_add_i32 s13, s13, s18
	s_mul_hi_u32 s14, s11, s12
	s_mul_i32 s15, s11, s12
	s_mul_i32 s19, s10, s13
	s_mul_hi_u32 s12, s10, s12
	s_mul_hi_u32 s18, s10, s13
	s_add_u32 s12, s12, s19
	s_addc_u32 s18, 0, s18
	s_add_u32 s12, s12, s15
	s_mul_hi_u32 s19, s11, s13
	s_addc_u32 s12, s18, s14
	s_addc_u32 s14, s19, 0
	s_mul_i32 s13, s11, s13
	s_add_u32 s12, s12, s13
	v_mov_b32_e32 v1, s12
	s_addc_u32 s13, 0, s14
	v_add_co_u32_e32 v1, vcc, s10, v1
	s_cmp_lg_u64 vcc, 0
	s_addc_u32 s10, s11, s13
	v_readfirstlane_b32 s13, v1
	s_mul_i32 s12, s8, s10
	s_mul_hi_u32 s14, s8, s13
	s_mul_hi_u32 s11, s8, s10
	s_add_u32 s12, s14, s12
	s_addc_u32 s11, 0, s11
	s_mul_hi_u32 s15, s9, s13
	s_mul_i32 s13, s9, s13
	s_add_u32 s12, s12, s13
	s_mul_hi_u32 s14, s9, s10
	s_addc_u32 s11, s11, s15
	s_addc_u32 s12, s14, 0
	s_mul_i32 s10, s9, s10
	s_add_u32 s10, s11, s10
	s_addc_u32 s11, 0, s12
	s_add_u32 s12, s10, 1
	s_addc_u32 s13, s11, 0
	s_add_u32 s14, s10, 2
	s_mul_i32 s18, s11, 12
	s_mul_hi_u32 s19, s10, 12
	s_addc_u32 s15, s11, 0
	s_add_i32 s19, s19, s18
	s_mul_i32 s18, s10, 12
	v_mov_b32_e32 v1, s18
	v_sub_co_u32_e32 v1, vcc, s8, v1
	s_cmp_lg_u64 vcc, 0
	s_subb_u32 s8, s9, s19
	v_subrev_co_u32_e32 v2, vcc, 12, v1
	s_cmp_lg_u64 vcc, 0
	s_subb_u32 s9, s8, 0
	v_readfirstlane_b32 s18, v2
	s_cmp_gt_u32 s18, 11
	s_cselect_b32 s18, -1, 0
	s_cmp_eq_u32 s9, 0
	s_cselect_b32 s9, s18, -1
	s_cmp_lg_u32 s9, 0
	s_cselect_b32 s9, s14, s12
	s_cselect_b32 s12, s15, s13
	v_readfirstlane_b32 s13, v1
	s_cmp_gt_u32 s13, 11
	s_cselect_b32 s13, -1, 0
	s_cmp_eq_u32 s8, 0
	s_cselect_b32 s8, s13, -1
	s_cmp_lg_u32 s8, 0
	s_cselect_b32 s9, s9, s10
	s_cselect_b32 s8, s12, s11
	s_add_u32 s18, s9, 1
	s_addc_u32 s19, s8, 0
	v_mov_b32_e32 v1, s18
	v_mov_b32_e32 v2, s19
	v_cmp_lt_u64_e32 vcc, s[6:7], v[1:2]
	s_cbranch_vccnz .LBB0_2
; %bb.1:
	v_cvt_f32_u32_e32 v1, s18
	s_sub_i32 s8, 0, s18
	s_mov_b32 s23, s7
	v_rcp_iflag_f32_e32 v1, v1
	v_mul_f32_e32 v1, 0x4f7ffffe, v1
	v_cvt_u32_f32_e32 v1, v1
	v_readfirstlane_b32 s9, v1
	s_mul_i32 s8, s8, s9
	s_mul_hi_u32 s8, s9, s8
	s_add_i32 s9, s9, s8
	s_mul_hi_u32 s8, s6, s9
	s_mul_i32 s10, s8, s18
	s_sub_i32 s10, s6, s10
	s_add_i32 s9, s8, 1
	s_sub_i32 s11, s10, s18
	s_cmp_ge_u32 s10, s18
	s_cselect_b32 s8, s9, s8
	s_cselect_b32 s10, s11, s10
	s_add_i32 s9, s8, 1
	s_cmp_ge_u32 s10, s18
	s_cselect_b32 s22, s9, s8
.LBB0_2:
	s_load_dwordx2 s[14:15], s[4:5], 0x0
	s_load_dwordx4 s[8:11], s[2:3], 0x0
	s_load_dwordx2 s[12:13], s[4:5], 0x58
	s_load_dwordx2 s[20:21], s[4:5], 0x10
	s_mul_i32 s4, s22, s19
	s_mul_hi_u32 s5, s22, s18
	s_add_i32 s5, s5, s4
	s_mul_i32 s4, s22, s18
	s_sub_u32 s36, s6, s4
	s_subb_u32 s4, 0, s5
	s_mul_i32 s4, s4, 12
	s_mul_hi_u32 s33, s36, 12
	s_add_i32 s33, s33, s4
	s_mul_i32 s36, s36, 12
	s_waitcnt lgkmcnt(0)
	s_mul_i32 s4, s10, s33
	s_mul_hi_u32 s5, s10, s36
	s_add_i32 s4, s5, s4
	s_mul_i32 s5, s11, s36
	s_add_i32 s37, s4, s5
	v_cmp_lt_u64_e64 s[4:5], s[20:21], 3
	s_mul_i32 s38, s10, s36
	s_and_b64 vcc, exec, s[4:5]
	s_cbranch_vccnz .LBB0_12
; %bb.3:
	s_add_u32 s4, s2, 16
	s_addc_u32 s5, s3, 0
	s_add_u32 s24, s0, 16
	v_mov_b32_e32 v1, s20
	s_addc_u32 s25, s1, 0
	s_mov_b64 s[26:27], 2
	s_mov_b32 s28, 0
	v_mov_b32_e32 v2, s21
.LBB0_4:                                ; =>This Inner Loop Header: Depth=1
	s_load_dwordx2 s[30:31], s[24:25], 0x0
	s_waitcnt lgkmcnt(0)
	s_or_b64 s[0:1], s[22:23], s[30:31]
	s_mov_b32 s29, s1
	s_cmp_lg_u64 s[28:29], 0
	s_cbranch_scc0 .LBB0_9
; %bb.5:                                ;   in Loop: Header=BB0_4 Depth=1
	v_cvt_f32_u32_e32 v3, s30
	v_cvt_f32_u32_e32 v4, s31
	s_sub_u32 s0, 0, s30
	s_subb_u32 s1, 0, s31
	v_mac_f32_e32 v3, 0x4f800000, v4
	v_rcp_f32_e32 v3, v3
	v_mul_f32_e32 v3, 0x5f7ffffc, v3
	v_mul_f32_e32 v4, 0x2f800000, v3
	v_trunc_f32_e32 v4, v4
	v_mac_f32_e32 v3, 0xcf800000, v4
	v_cvt_u32_f32_e32 v4, v4
	v_cvt_u32_f32_e32 v3, v3
	v_readfirstlane_b32 s29, v4
	v_readfirstlane_b32 s34, v3
	s_mul_i32 s35, s0, s29
	s_mul_hi_u32 s40, s0, s34
	s_mul_i32 s39, s1, s34
	s_add_i32 s35, s40, s35
	s_mul_i32 s41, s0, s34
	s_add_i32 s35, s35, s39
	s_mul_hi_u32 s39, s34, s35
	s_mul_i32 s40, s34, s35
	s_mul_hi_u32 s34, s34, s41
	s_add_u32 s34, s34, s40
	s_addc_u32 s39, 0, s39
	s_mul_hi_u32 s42, s29, s41
	s_mul_i32 s41, s29, s41
	s_add_u32 s34, s34, s41
	s_mul_hi_u32 s40, s29, s35
	s_addc_u32 s34, s39, s42
	s_addc_u32 s39, s40, 0
	s_mul_i32 s35, s29, s35
	s_add_u32 s34, s34, s35
	s_addc_u32 s35, 0, s39
	v_add_co_u32_e32 v3, vcc, s34, v3
	s_cmp_lg_u64 vcc, 0
	s_addc_u32 s29, s29, s35
	v_readfirstlane_b32 s35, v3
	s_mul_i32 s34, s0, s29
	s_mul_hi_u32 s39, s0, s35
	s_add_i32 s34, s39, s34
	s_mul_i32 s1, s1, s35
	s_add_i32 s34, s34, s1
	s_mul_i32 s0, s0, s35
	s_mul_hi_u32 s39, s29, s0
	s_mul_i32 s40, s29, s0
	s_mul_i32 s42, s35, s34
	s_mul_hi_u32 s0, s35, s0
	s_mul_hi_u32 s41, s35, s34
	s_add_u32 s0, s0, s42
	s_addc_u32 s35, 0, s41
	s_add_u32 s0, s0, s40
	s_mul_hi_u32 s1, s29, s34
	s_addc_u32 s0, s35, s39
	s_addc_u32 s1, s1, 0
	s_mul_i32 s34, s29, s34
	s_add_u32 s0, s0, s34
	s_addc_u32 s1, 0, s1
	v_add_co_u32_e32 v3, vcc, s0, v3
	s_cmp_lg_u64 vcc, 0
	s_addc_u32 s0, s29, s1
	v_readfirstlane_b32 s34, v3
	s_mul_i32 s29, s22, s0
	s_mul_hi_u32 s35, s22, s34
	s_mul_hi_u32 s1, s22, s0
	s_add_u32 s29, s35, s29
	s_addc_u32 s1, 0, s1
	s_mul_hi_u32 s39, s23, s34
	s_mul_i32 s34, s23, s34
	s_add_u32 s29, s29, s34
	s_mul_hi_u32 s35, s23, s0
	s_addc_u32 s1, s1, s39
	s_addc_u32 s29, s35, 0
	s_mul_i32 s0, s23, s0
	s_add_u32 s34, s1, s0
	s_addc_u32 s29, 0, s29
	s_mul_i32 s0, s30, s29
	s_mul_hi_u32 s1, s30, s34
	s_add_i32 s0, s1, s0
	s_mul_i32 s1, s31, s34
	s_add_i32 s35, s0, s1
	s_mul_i32 s1, s30, s34
	v_mov_b32_e32 v3, s1
	s_sub_i32 s0, s23, s35
	v_sub_co_u32_e32 v3, vcc, s22, v3
	s_cmp_lg_u64 vcc, 0
	s_subb_u32 s39, s0, s31
	v_subrev_co_u32_e64 v4, s[0:1], s30, v3
	s_cmp_lg_u64 s[0:1], 0
	s_subb_u32 s0, s39, 0
	s_cmp_ge_u32 s0, s31
	v_readfirstlane_b32 s39, v4
	s_cselect_b32 s1, -1, 0
	s_cmp_ge_u32 s39, s30
	s_cselect_b32 s39, -1, 0
	s_cmp_eq_u32 s0, s31
	s_cselect_b32 s0, s39, s1
	s_add_u32 s1, s34, 1
	s_addc_u32 s39, s29, 0
	s_add_u32 s40, s34, 2
	s_addc_u32 s41, s29, 0
	s_cmp_lg_u32 s0, 0
	s_cselect_b32 s0, s40, s1
	s_cselect_b32 s1, s41, s39
	s_cmp_lg_u64 vcc, 0
	s_subb_u32 s35, s23, s35
	s_cmp_ge_u32 s35, s31
	v_readfirstlane_b32 s40, v3
	s_cselect_b32 s39, -1, 0
	s_cmp_ge_u32 s40, s30
	s_cselect_b32 s40, -1, 0
	s_cmp_eq_u32 s35, s31
	s_cselect_b32 s35, s40, s39
	s_cmp_lg_u32 s35, 0
	s_cselect_b32 s1, s1, s29
	s_cselect_b32 s0, s0, s34
	s_cbranch_execnz .LBB0_7
.LBB0_6:                                ;   in Loop: Header=BB0_4 Depth=1
	v_cvt_f32_u32_e32 v3, s30
	s_sub_i32 s0, 0, s30
	v_rcp_iflag_f32_e32 v3, v3
	v_mul_f32_e32 v3, 0x4f7ffffe, v3
	v_cvt_u32_f32_e32 v3, v3
	v_readfirstlane_b32 s1, v3
	s_mul_i32 s0, s0, s1
	s_mul_hi_u32 s0, s1, s0
	s_add_i32 s1, s1, s0
	s_mul_hi_u32 s0, s22, s1
	s_mul_i32 s29, s0, s30
	s_sub_i32 s29, s22, s29
	s_add_i32 s1, s0, 1
	s_sub_i32 s34, s29, s30
	s_cmp_ge_u32 s29, s30
	s_cselect_b32 s0, s1, s0
	s_cselect_b32 s29, s34, s29
	s_add_i32 s1, s0, 1
	s_cmp_ge_u32 s29, s30
	s_cselect_b32 s0, s1, s0
	s_mov_b32 s1, s28
.LBB0_7:                                ;   in Loop: Header=BB0_4 Depth=1
	s_mul_i32 s19, s30, s19
	s_mul_hi_u32 s29, s30, s18
	s_add_i32 s19, s29, s19
	s_mul_i32 s29, s31, s18
	s_add_i32 s19, s19, s29
	s_mul_i32 s29, s0, s31
	s_mul_hi_u32 s31, s0, s30
	s_load_dwordx2 s[34:35], s[4:5], 0x0
	s_add_i32 s29, s31, s29
	s_mul_i32 s31, s1, s30
	s_mul_i32 s18, s30, s18
	s_add_i32 s29, s29, s31
	s_mul_i32 s30, s0, s30
	s_sub_u32 s22, s22, s30
	s_subb_u32 s23, s23, s29
	s_waitcnt lgkmcnt(0)
	s_mul_i32 s23, s34, s23
	s_mul_hi_u32 s29, s34, s22
	s_add_i32 s23, s29, s23
	s_mul_i32 s29, s35, s22
	s_add_i32 s23, s23, s29
	s_mul_i32 s22, s34, s22
	s_add_u32 s38, s22, s38
	s_addc_u32 s37, s23, s37
	s_add_u32 s26, s26, 1
	s_addc_u32 s27, s27, 0
	;; [unrolled: 2-line block ×3, first 2 shown]
	v_cmp_ge_u64_e32 vcc, s[26:27], v[1:2]
	s_add_u32 s24, s24, 8
	s_addc_u32 s25, s25, 0
	s_cbranch_vccnz .LBB0_10
; %bb.8:                                ;   in Loop: Header=BB0_4 Depth=1
	s_mov_b64 s[22:23], s[0:1]
	s_branch .LBB0_4
.LBB0_9:                                ;   in Loop: Header=BB0_4 Depth=1
                                        ; implicit-def: $sgpr0_sgpr1
	s_branch .LBB0_6
.LBB0_10:
	v_mov_b32_e32 v1, s18
	v_mov_b32_e32 v2, s19
	v_cmp_lt_u64_e32 vcc, s[6:7], v[1:2]
	s_mov_b64 s[22:23], 0
	s_cbranch_vccnz .LBB0_12
; %bb.11:
	v_cvt_f32_u32_e32 v1, s18
	s_sub_i32 s0, 0, s18
	v_rcp_iflag_f32_e32 v1, v1
	v_mul_f32_e32 v1, 0x4f7ffffe, v1
	v_cvt_u32_f32_e32 v1, v1
	v_readfirstlane_b32 s1, v1
	s_mul_i32 s0, s0, s1
	s_mul_hi_u32 s0, s1, s0
	s_add_i32 s1, s1, s0
	s_mul_hi_u32 s0, s6, s1
	s_mul_i32 s4, s0, s18
	s_sub_i32 s4, s6, s4
	s_add_i32 s1, s0, 1
	s_sub_i32 s5, s4, s18
	s_cmp_ge_u32 s4, s18
	s_cselect_b32 s0, s1, s0
	s_cselect_b32 s4, s5, s4
	s_add_i32 s1, s0, 1
	s_cmp_ge_u32 s4, s18
	s_cselect_b32 s22, s1, s0
.LBB0_12:
	s_lshl_b64 s[0:1], s[20:21], 3
	s_add_u32 s0, s2, s0
	s_addc_u32 s1, s3, s1
	s_load_dwordx2 s[0:1], s[0:1], 0x0
	v_mov_b32_e32 v1, s16
	v_mul_u32_u24_e32 v3, 0x1556, v0
	v_mov_b32_e32 v2, s17
	v_lshrrev_b32_e32 v25, 16, v3
	s_waitcnt lgkmcnt(0)
	s_mul_i32 s1, s1, s22
	s_mul_hi_u32 s2, s0, s22
	s_mul_i32 s0, s0, s22
	s_add_i32 s1, s2, s1
	s_add_u32 s2, s0, s38
	s_addc_u32 s3, s1, s37
	s_add_u32 s0, s36, 12
	s_addc_u32 s1, s33, 0
	v_cmp_le_u64_e32 vcc, s[0:1], v[1:2]
	v_mul_lo_u16_e32 v1, 12, v25
	v_sub_u16_e32 v30, v0, v1
	v_mov_b32_e32 v2, s33
	v_add_co_u32_e64 v1, s[0:1], s36, v30
	v_addc_co_u32_e64 v2, s[0:1], 0, v2, s[0:1]
	v_cmp_gt_u64_e64 s[0:1], s[16:17], v[1:2]
	v_lshlrev_b32_e32 v31, 3, v25
	s_or_b64 s[4:5], vcc, s[0:1]
	v_add_u32_e32 v29, 16, v25
	v_or_b32_e32 v28, 32, v25
	v_add_u32_e32 v27, 48, v25
	v_or_b32_e32 v26, 64, v25
	s_and_saveexec_b64 s[0:1], s[4:5]
	s_cbranch_execz .LBB0_14
; %bb.13:
	v_mad_u64_u32 v[1:2], s[6:7], s10, v30, 0
	v_mad_u64_u32 v[3:4], s[6:7], s8, v25, 0
	;; [unrolled: 1-line block ×3, first 2 shown]
	v_mov_b32_e32 v2, v4
	v_mad_u64_u32 v[6:7], s[6:7], s9, v25, v[2:3]
	s_lshl_b64 s[6:7], s[2:3], 3
	s_add_u32 s16, s12, s6
	s_addc_u32 s6, s13, s7
	v_mov_b32_e32 v2, v5
	v_mov_b32_e32 v4, v6
	;; [unrolled: 1-line block ×3, first 2 shown]
	v_mad_u64_u32 v[5:6], s[6:7], s8, v29, 0
	v_lshlrev_b64 v[1:2], 3, v[1:2]
	v_mad_u64_u32 v[9:10], s[6:7], s8, v27, 0
	v_add_co_u32_e32 v38, vcc, s16, v1
	v_addc_co_u32_e32 v39, vcc, v7, v2, vcc
	v_lshlrev_b64 v[1:2], 3, v[3:4]
	v_mov_b32_e32 v3, v6
	v_mad_u64_u32 v[3:4], s[6:7], s9, v29, v[3:4]
	v_mad_u64_u32 v[7:8], s[6:7], s8, v28, 0
	v_mov_b32_e32 v6, v3
	v_lshlrev_b64 v[3:4], 3, v[5:6]
	v_mov_b32_e32 v5, v8
	v_mad_u64_u32 v[5:6], s[6:7], s9, v28, v[5:6]
	v_add_co_u32_e32 v1, vcc, v38, v1
	v_mov_b32_e32 v8, v5
	v_lshlrev_b64 v[5:6], 3, v[7:8]
	v_mov_b32_e32 v7, v10
	v_mad_u64_u32 v[7:8], s[6:7], s9, v27, v[7:8]
	v_addc_co_u32_e32 v2, vcc, v39, v2, vcc
	v_add_co_u32_e32 v3, vcc, v38, v3
	v_mov_b32_e32 v10, v7
	v_addc_co_u32_e32 v4, vcc, v39, v4, vcc
	v_lshlrev_b64 v[7:8], 3, v[9:10]
	v_mad_u64_u32 v[9:10], s[6:7], s8, v26, 0
	v_add_co_u32_e32 v5, vcc, v38, v5
	v_addc_co_u32_e32 v6, vcc, v39, v6, vcc
	v_add_co_u32_e32 v7, vcc, v38, v7
	v_addc_co_u32_e32 v8, vcc, v39, v8, vcc
	global_load_dwordx2 v[11:12], v[1:2], off
	global_load_dwordx2 v[13:14], v[3:4], off
	;; [unrolled: 1-line block ×4, first 2 shown]
	v_mov_b32_e32 v1, v10
	v_add_u32_e32 v6, 0x50, v25
	v_mad_u64_u32 v[1:2], s[6:7], s9, v26, v[1:2]
	v_mad_u64_u32 v[2:3], s[6:7], s8, v6, 0
	v_or_b32_e32 v8, 0x60, v25
	v_mad_u64_u32 v[4:5], s[6:7], s8, v8, 0
	v_mov_b32_e32 v10, v1
	v_mov_b32_e32 v1, v3
	v_mad_u64_u32 v[6:7], s[6:7], s9, v6, v[1:2]
	v_mov_b32_e32 v1, v5
	v_mad_u64_u32 v[7:8], s[6:7], s9, v8, v[1:2]
	v_mov_b32_e32 v3, v6
	v_add_u32_e32 v6, 0x70, v25
	v_mad_u64_u32 v[19:20], s[6:7], s8, v6, 0
	v_mov_b32_e32 v5, v7
	v_lshlrev_b64 v[1:2], 3, v[2:3]
	v_lshlrev_b64 v[3:4], 3, v[4:5]
	v_mov_b32_e32 v5, v20
	v_lshlrev_b64 v[8:9], 3, v[9:10]
	v_mad_u64_u32 v[5:6], s[6:7], s9, v6, v[5:6]
	v_or_b32_e32 v10, 0x80, v25
	v_mad_u64_u32 v[6:7], s[6:7], s8, v10, 0
	v_mov_b32_e32 v20, v5
	v_add_co_u32_e32 v8, vcc, v38, v8
	v_mov_b32_e32 v5, v7
	v_mad_u64_u32 v[21:22], s[6:7], s9, v10, v[5:6]
	v_add_u32_e32 v10, 0x90, v25
	v_mad_u64_u32 v[22:23], s[6:7], s8, v10, 0
	v_addc_co_u32_e32 v9, vcc, v39, v9, vcc
	v_add_co_u32_e32 v1, vcc, v38, v1
	v_mov_b32_e32 v7, v21
	v_addc_co_u32_e32 v2, vcc, v39, v2, vcc
	v_lshlrev_b64 v[5:6], 3, v[6:7]
	v_mov_b32_e32 v7, v23
	v_add_co_u32_e32 v3, vcc, v38, v3
	v_lshlrev_b64 v[19:20], 3, v[19:20]
	v_mad_u64_u32 v[23:24], s[6:7], s9, v10, v[7:8]
	v_addc_co_u32_e32 v4, vcc, v39, v4, vcc
	v_add_co_u32_e32 v19, vcc, v38, v19
	v_addc_co_u32_e32 v20, vcc, v39, v20, vcc
	v_add_co_u32_e32 v5, vcc, v38, v5
	v_lshlrev_b64 v[21:22], 3, v[22:23]
	v_addc_co_u32_e32 v6, vcc, v39, v6, vcc
	global_load_dwordx2 v[23:24], v[8:9], off
	global_load_dwordx2 v[32:33], v[1:2], off
	;; [unrolled: 1-line block ×4, first 2 shown]
	v_add_co_u32_e32 v1, vcc, v38, v21
	v_addc_co_u32_e32 v2, vcc, v39, v22, vcc
	global_load_dwordx2 v[3:4], v[5:6], off
	global_load_dwordx2 v[7:8], v[1:2], off
	v_mul_u32_u24_e32 v1, 0x500, v30
	v_add3_u32 v1, 0, v1, v31
	s_waitcnt vmcnt(8)
	ds_write2_b64 v1, v[11:12], v[13:14] offset1:16
	s_waitcnt vmcnt(6)
	ds_write2_b64 v1, v[15:16], v[17:18] offset0:32 offset1:48
	s_waitcnt vmcnt(4)
	ds_write2_b64 v1, v[23:24], v[32:33] offset0:64 offset1:80
	;; [unrolled: 2-line block ×4, first 2 shown]
.LBB0_14:
	s_or_b64 exec, exec, s[0:1]
	s_add_u32 s0, 0, 0x55540000
	s_addc_u32 s1, 0, 0x55
	s_add_i32 s1, s1, 0x15555500
	s_mul_hi_u32 s17, s0, -12
	s_sub_i32 s17, s17, s0
	s_mul_i32 s18, s1, -12
	s_mul_i32 s6, s0, -12
	s_add_i32 s17, s17, s18
	s_mul_hi_u32 s7, s1, s6
	s_mul_i32 s16, s1, s6
	s_mul_i32 s19, s0, s17
	s_mul_hi_u32 s6, s0, s6
	s_mul_hi_u32 s18, s0, s17
	s_add_u32 s6, s6, s19
	s_addc_u32 s18, 0, s18
	s_add_u32 s6, s6, s16
	s_mul_hi_u32 s19, s1, s17
	s_addc_u32 s6, s18, s7
	v_lshrrev_b32_e32 v1, 4, v0
	s_addc_u32 s7, s19, 0
	s_mul_i32 s16, s1, s17
	v_mov_b32_e32 v2, s33
	v_add_co_u32_e32 v5, vcc, s36, v1
	s_add_u32 s6, s6, s16
	v_addc_co_u32_e32 v6, vcc, 0, v2, vcc
	v_mov_b32_e32 v1, s6
	s_addc_u32 s7, 0, s7
	v_add_co_u32_e32 v3, vcc, s0, v1
	s_cmp_lg_u64 vcc, 0
	s_addc_u32 s6, s1, s7
	v_mad_u64_u32 v[1:2], s[0:1], v5, s6, 0
	v_mul_hi_u32 v4, v5, v3
	v_and_b32_e32 v33, 15, v0
	s_waitcnt lgkmcnt(0)
	s_barrier
	v_add_co_u32_e32 v7, vcc, v4, v1
	v_addc_co_u32_e32 v8, vcc, 0, v2, vcc
	v_mad_u64_u32 v[1:2], s[0:1], v6, v3, 0
	v_mad_u64_u32 v[3:4], s[0:1], v6, s6, 0
	v_add_co_u32_e32 v1, vcc, v7, v1
	v_addc_co_u32_e32 v1, vcc, v8, v2, vcc
	v_addc_co_u32_e32 v2, vcc, 0, v4, vcc
	v_add_co_u32_e32 v1, vcc, v1, v3
	v_addc_co_u32_e32 v3, vcc, 0, v2, vcc
	v_mad_u64_u32 v[1:2], s[0:1], v1, 12, 0
	v_or_b32_e32 v34, 32, v33
	v_mad_u64_u32 v[2:3], s[0:1], v3, 12, v[2:3]
	v_sub_co_u32_e32 v1, vcc, v5, v1
	v_subb_co_u32_e32 v2, vcc, v6, v2, vcc
	v_subrev_co_u32_e32 v3, vcc, 12, v1
	v_subbrev_co_u32_e32 v4, vcc, 0, v2, vcc
	v_cmp_lt_u32_e32 vcc, 11, v3
	v_cndmask_b32_e64 v5, 0, -1, vcc
	v_cmp_eq_u32_e32 vcc, 0, v4
	v_cndmask_b32_e32 v4, -1, v5, vcc
	v_add_u32_e32 v5, -12, v3
	v_cmp_ne_u32_e32 vcc, 0, v4
	v_cndmask_b32_e32 v3, v3, v5, vcc
	v_cmp_lt_u32_e32 vcc, 11, v1
	v_cndmask_b32_e64 v4, 0, -1, vcc
	v_cmp_eq_u32_e32 vcc, 0, v2
	v_cndmask_b32_e32 v2, -1, v4, vcc
	v_cmp_ne_u32_e32 vcc, 0, v2
	v_cndmask_b32_e32 v1, v1, v3, vcc
	v_mul_u32_u24_e32 v35, 0xa0, v1
	v_lshlrev_b32_e32 v1, 3, v33
	v_lshlrev_b32_e32 v9, 3, v35
	v_add_u32_e32 v36, 0, v1
	v_add_u32_e32 v20, 0, v9
	;; [unrolled: 1-line block ×4, first 2 shown]
	ds_read2_b64 v[1:4], v32 offset0:72 offset1:80
	ds_read_b64 v[14:15], v21
	ds_read2_b64 v[5:8], v32 offset0:40 offset1:56
	ds_read_b64 v[18:19], v32 offset:1216
	ds_read2_b64 v[10:13], v32 offset0:120 offset1:136
	v_mad_u32_u24 v24, v33, 24, v32
	s_waitcnt lgkmcnt(3)
	v_sub_f32_e32 v3, v14, v3
	v_sub_f32_e32 v4, v15, v4
	v_fma_f32 v14, v14, 2.0, -v3
	s_waitcnt lgkmcnt(0)
	v_sub_f32_e32 v16, v5, v10
	v_sub_f32_e32 v17, v6, v11
	v_fma_f32 v15, v15, 2.0, -v4
	v_fma_f32 v5, v5, 2.0, -v16
	;; [unrolled: 1-line block ×3, first 2 shown]
	v_sub_f32_e32 v10, v14, v5
	v_sub_f32_e32 v11, v15, v6
	v_add_f32_e32 v37, v3, v17
	v_sub_f32_e32 v38, v4, v16
	v_fma_f32 v22, v14, 2.0, -v10
	v_fma_f32 v23, v15, 2.0, -v11
	;; [unrolled: 1-line block ×4, first 2 shown]
	ds_read2_b64 v[14:17], v32 offset0:16 offset1:32
	ds_read2_b64 v[3:6], v32 offset0:96 offset1:112
	s_waitcnt lgkmcnt(0)
	s_barrier
	ds_write2_b64 v24, v[22:23], v[39:40] offset1:1
	ds_write2_b64 v24, v[10:11], v[37:38] offset0:2 offset1:3
	v_sub_f32_e32 v22, v7, v12
	v_sub_f32_e32 v23, v8, v13
	;; [unrolled: 1-line block ×4, first 2 shown]
	v_fma_f32 v10, v7, 2.0, -v22
	v_fma_f32 v11, v8, 2.0, -v23
	v_sub_f32_e32 v5, v16, v5
	v_sub_f32_e32 v6, v17, v6
	v_fma_f32 v12, v14, 2.0, -v3
	v_fma_f32 v13, v15, 2.0, -v4
	v_sub_f32_e32 v18, v1, v18
	v_sub_f32_e32 v19, v2, v19
	v_fma_f32 v7, v16, 2.0, -v5
	v_fma_f32 v8, v17, 2.0, -v6
	;; [unrolled: 1-line block ×4, first 2 shown]
	v_sub_f32_e32 v10, v12, v10
	v_sub_f32_e32 v11, v13, v11
	v_add_f32_e32 v14, v3, v23
	v_sub_f32_e32 v15, v4, v22
	v_fma_f32 v12, v12, 2.0, -v10
	v_fma_f32 v13, v13, 2.0, -v11
	;; [unrolled: 1-line block ×4, first 2 shown]
	v_sub_f32_e32 v1, v7, v1
	v_sub_f32_e32 v2, v8, v2
	v_add_f32_e32 v3, v5, v19
	v_sub_f32_e32 v4, v6, v18
	v_lshl_add_u32 v18, v33, 5, v20
	v_cmp_gt_u32_e32 vcc, 8, v33
	ds_write2_b64 v18, v[12:13], v[16:17] offset0:64 offset1:65
	ds_write2_b64 v18, v[10:11], v[14:15] offset0:66 offset1:67
	s_and_saveexec_b64 s[0:1], vcc
	s_cbranch_execz .LBB0_16
; %bb.15:
	v_lshlrev_b32_e32 v10, 5, v34
	v_fma_f32 v6, v6, 2.0, -v4
	v_fma_f32 v5, v5, 2.0, -v3
	;; [unrolled: 1-line block ×4, first 2 shown]
	v_add3_u32 v10, 0, v10, v9
	ds_write2_b64 v10, v[7:8], v[5:6] offset1:1
	ds_write2_b64 v10, v[1:2], v[3:4] offset0:2 offset1:3
.LBB0_16:
	s_or_b64 exec, exec, s[0:1]
	v_and_b32_e32 v0, 3, v0
	v_mul_u32_u24_e32 v5, 9, v0
	v_lshlrev_b32_e32 v20, 3, v5
	s_waitcnt lgkmcnt(0)
	s_barrier
	global_load_dwordx4 v[5:8], v20, s[14:15]
	global_load_dwordx4 v[10:13], v20, s[14:15] offset:16
	global_load_dwordx4 v[14:17], v20, s[14:15] offset:32
	;; [unrolled: 1-line block ×3, first 2 shown]
	global_load_dwordx2 v[18:19], v20, s[14:15] offset:64
	ds_read2_b64 v[41:44], v32 offset0:16 offset1:32
	ds_read2_b64 v[45:48], v32 offset0:48 offset1:64
	s_waitcnt vmcnt(4) lgkmcnt(1)
	v_mul_f32_e32 v20, v6, v42
	v_mul_f32_e32 v6, v6, v41
	;; [unrolled: 1-line block ×4, first 2 shown]
	v_fmac_f32_e32 v20, v5, v41
	v_fma_f32 v41, v5, v42, -v6
	v_fmac_f32_e32 v24, v7, v43
	v_fma_f32 v42, v7, v44, -v8
	ds_read2_b64 v[5:8], v32 offset0:80 offset1:96
	s_waitcnt vmcnt(3) lgkmcnt(1)
	v_mul_f32_e32 v44, v13, v48
	v_mul_f32_e32 v43, v11, v46
	;; [unrolled: 1-line block ×4, first 2 shown]
	v_fmac_f32_e32 v44, v12, v47
	s_waitcnt vmcnt(2) lgkmcnt(0)
	v_mul_f32_e32 v47, v15, v6
	v_mul_f32_e32 v15, v15, v5
	v_fmac_f32_e32 v43, v10, v45
	v_fma_f32 v45, v10, v46, -v11
	v_fma_f32 v46, v12, v48, -v13
	ds_read2_b64 v[10:13], v32 offset0:112 offset1:128
	ds_read_b64 v[22:23], v21
	v_fmac_f32_e32 v47, v14, v5
	v_fma_f32 v14, v14, v6, -v15
	ds_read_b64 v[5:6], v32 offset:1152
	v_mul_f32_e32 v48, v8, v17
	v_mul_f32_e32 v17, v7, v17
	v_fmac_f32_e32 v48, v7, v16
	v_fma_f32 v7, v8, v16, -v17
	s_waitcnt vmcnt(1) lgkmcnt(2)
	v_mul_f32_e32 v16, v13, v40
	v_mul_f32_e32 v8, v11, v38
	v_mul_f32_e32 v15, v10, v38
	v_mul_f32_e32 v17, v12, v40
	s_waitcnt vmcnt(0) lgkmcnt(0)
	v_mul_f32_e32 v38, v6, v19
	v_mul_f32_e32 v19, v5, v19
	v_fmac_f32_e32 v16, v12, v39
	v_add_f32_e32 v12, v44, v48
	v_fmac_f32_e32 v8, v10, v37
	v_fma_f32 v10, v11, v37, -v15
	v_fma_f32 v11, v13, v39, -v17
	v_fmac_f32_e32 v38, v5, v18
	v_fma_f32 v5, v6, v18, -v19
	v_sub_f32_e32 v17, v24, v44
	v_sub_f32_e32 v18, v16, v48
	v_add_f32_e32 v19, v24, v16
	v_sub_f32_e32 v37, v44, v24
	v_sub_f32_e32 v39, v48, v16
	v_fma_f32 v50, -0.5, v12, v22
	v_sub_f32_e32 v13, v42, v11
	v_add_f32_e32 v40, v23, v42
	v_add_f32_e32 v49, v46, v7
	;; [unrolled: 1-line block ×3, first 2 shown]
	v_fma_f32 v17, -0.5, v19, v22
	v_add_f32_e32 v18, v37, v39
	v_mov_b32_e32 v39, v50
	v_add_f32_e32 v6, v22, v24
	v_sub_f32_e32 v15, v46, v7
	v_add_f32_e32 v19, v40, v46
	v_fma_f32 v22, -0.5, v49, v23
	v_fmac_f32_e32 v50, 0x3f737871, v13
	v_mov_b32_e32 v40, v17
	v_fmac_f32_e32 v39, 0xbf737871, v13
	v_sub_f32_e32 v24, v24, v16
	v_fmac_f32_e32 v17, 0xbf737871, v15
	v_mov_b32_e32 v49, v22
	v_fmac_f32_e32 v50, 0x3f167918, v15
	v_fmac_f32_e32 v40, 0x3f737871, v15
	;; [unrolled: 1-line block ×8, first 2 shown]
	v_sub_f32_e32 v12, v44, v48
	v_sub_f32_e32 v13, v42, v46
	;; [unrolled: 1-line block ×3, first 2 shown]
	v_fmac_f32_e32 v22, 0xbf737871, v24
	v_fmac_f32_e32 v49, 0x3f167918, v12
	v_add_f32_e32 v13, v13, v15
	v_fmac_f32_e32 v22, 0xbf167918, v12
	v_fmac_f32_e32 v49, 0x3e9e377a, v13
	;; [unrolled: 1-line block ×3, first 2 shown]
	v_add_f32_e32 v13, v42, v11
	v_fmac_f32_e32 v23, -0.5, v13
	v_add_f32_e32 v6, v6, v44
	v_mov_b32_e32 v44, v23
	v_add_f32_e32 v19, v19, v7
	v_fmac_f32_e32 v44, 0xbf737871, v12
	v_sub_f32_e32 v13, v46, v42
	v_sub_f32_e32 v7, v7, v11
	v_fmac_f32_e32 v23, 0x3f737871, v12
	v_fmac_f32_e32 v44, 0x3f167918, v24
	v_add_f32_e32 v7, v13, v7
	v_fmac_f32_e32 v23, 0xbf167918, v24
	v_fmac_f32_e32 v44, 0x3e9e377a, v7
	v_fmac_f32_e32 v23, 0x3e9e377a, v7
	v_add_f32_e32 v7, v20, v43
	v_add_f32_e32 v7, v7, v47
	;; [unrolled: 1-line block ×5, first 2 shown]
	v_fma_f32 v7, -0.5, v7, v20
	v_add_f32_e32 v6, v6, v48
	v_add_f32_e32 v51, v19, v11
	v_sub_f32_e32 v11, v45, v5
	v_mov_b32_e32 v13, v7
	v_add_f32_e32 v6, v6, v16
	v_fmac_f32_e32 v13, 0xbf737871, v11
	v_sub_f32_e32 v12, v14, v10
	v_sub_f32_e32 v15, v43, v47
	;; [unrolled: 1-line block ×3, first 2 shown]
	v_fmac_f32_e32 v7, 0x3f737871, v11
	v_fmac_f32_e32 v13, 0xbf167918, v12
	v_add_f32_e32 v15, v15, v16
	v_fmac_f32_e32 v7, 0x3f167918, v12
	v_fmac_f32_e32 v13, 0x3e9e377a, v15
	;; [unrolled: 1-line block ×3, first 2 shown]
	v_add_f32_e32 v15, v43, v38
	v_fmac_f32_e32 v20, -0.5, v15
	v_mov_b32_e32 v15, v20
	v_fmac_f32_e32 v15, 0x3f737871, v12
	v_fmac_f32_e32 v20, 0xbf737871, v12
	;; [unrolled: 1-line block ×4, first 2 shown]
	v_add_f32_e32 v11, v41, v45
	v_add_f32_e32 v11, v11, v14
	v_add_f32_e32 v11, v11, v10
	v_fmac_f32_e32 v17, 0x3e9e377a, v18
	v_fmac_f32_e32 v40, 0x3e9e377a, v18
	v_sub_f32_e32 v16, v47, v43
	v_sub_f32_e32 v18, v8, v38
	v_add_f32_e32 v42, v11, v5
	v_add_f32_e32 v11, v14, v10
	;; [unrolled: 1-line block ×3, first 2 shown]
	v_fma_f32 v11, -0.5, v11, v41
	v_fmac_f32_e32 v15, 0x3e9e377a, v16
	v_fmac_f32_e32 v20, 0x3e9e377a, v16
	v_sub_f32_e32 v12, v43, v38
	v_mov_b32_e32 v16, v11
	v_fmac_f32_e32 v16, 0x3f737871, v12
	v_sub_f32_e32 v8, v47, v8
	v_sub_f32_e32 v18, v45, v14
	;; [unrolled: 1-line block ×3, first 2 shown]
	v_fmac_f32_e32 v11, 0xbf737871, v12
	v_fmac_f32_e32 v16, 0x3f167918, v8
	v_add_f32_e32 v18, v18, v19
	v_fmac_f32_e32 v11, 0xbf167918, v8
	v_fmac_f32_e32 v16, 0x3e9e377a, v18
	;; [unrolled: 1-line block ×3, first 2 shown]
	v_add_f32_e32 v18, v45, v5
	v_fmac_f32_e32 v41, -0.5, v18
	v_mov_b32_e32 v18, v41
	v_sub_f32_e32 v14, v14, v45
	v_sub_f32_e32 v5, v10, v5
	v_fmac_f32_e32 v41, 0x3f737871, v8
	v_fmac_f32_e32 v18, 0xbf737871, v8
	v_add_f32_e32 v5, v14, v5
	v_fmac_f32_e32 v41, 0xbf167918, v12
	v_fmac_f32_e32 v18, 0x3f167918, v12
	;; [unrolled: 1-line block ×4, first 2 shown]
	v_mul_f32_e32 v5, 0xbf737871, v41
	v_mul_f32_e32 v46, 0xbe9e377a, v41
	;; [unrolled: 1-line block ×3, first 2 shown]
	v_fmac_f32_e32 v5, 0xbe9e377a, v20
	v_fmac_f32_e32 v46, 0x3f737871, v20
	v_mul_f32_e32 v20, 0xbf4f1bbd, v11
	v_fmac_f32_e32 v8, 0x3f4f1bbd, v13
	v_fmac_f32_e32 v20, 0x3f167918, v7
	v_add_f32_e32 v12, v39, v8
	v_add_f32_e32 v19, v22, v20
	v_sub_f32_e32 v39, v39, v8
	v_sub_f32_e32 v8, v22, v20
	v_lshrrev_b32_e32 v20, 2, v33
	v_mul_f32_e32 v43, 0x3f4f1bbd, v16
	v_mul_u32_u24_e32 v20, 40, v20
	v_mul_f32_e32 v38, 0xbf737871, v18
	v_fmac_f32_e32 v43, 0x3f167918, v13
	v_mul_f32_e32 v45, 0x3e9e377a, v18
	v_mul_f32_e32 v13, 0xbf167918, v11
	v_or_b32_e32 v0, v20, v0
	v_fmac_f32_e32 v38, 0x3e9e377a, v15
	v_fmac_f32_e32 v45, 0x3f737871, v15
	;; [unrolled: 1-line block ×3, first 2 shown]
	v_lshlrev_b32_e32 v0, 3, v0
	v_add_f32_e32 v10, v6, v24
	v_add_f32_e32 v14, v40, v38
	;; [unrolled: 1-line block ×3, first 2 shown]
	v_sub_f32_e32 v5, v17, v5
	v_sub_f32_e32 v7, v50, v13
	v_add_f32_e32 v18, v50, v13
	v_add_f32_e32 v11, v51, v42
	;; [unrolled: 1-line block ×5, first 2 shown]
	v_add3_u32 v0, 0, v0, v9
	v_sub_f32_e32 v37, v6, v24
	v_sub_f32_e32 v41, v40, v38
	;; [unrolled: 1-line block ×6, first 2 shown]
	s_barrier
	ds_write2_b64 v0, v[10:11], v[12:13] offset1:4
	ds_write2_b64 v0, v[14:15], v[16:17] offset0:8 offset1:12
	ds_write2_b64 v0, v[18:19], v[37:38] offset0:16 offset1:20
	;; [unrolled: 1-line block ×4, first 2 shown]
	s_waitcnt lgkmcnt(0)
	s_barrier
	ds_read2_b64 v[9:12], v32 offset0:16 offset1:40
	ds_read2_b64 v[13:16], v32 offset0:56 offset1:80
	;; [unrolled: 1-line block ×3, first 2 shown]
	ds_read_b64 v[21:22], v21
	ds_read_b64 v[23:24], v32 offset:1088
	s_and_saveexec_b64 s[0:1], vcc
	s_cbranch_execz .LBB0_18
; %bb.17:
	ds_read2_b64 v[5:8], v32 offset0:32 offset1:72
	ds_read2_b64 v[1:4], v32 offset0:112 offset1:152
.LBB0_18:
	s_or_b64 exec, exec, s[0:1]
	v_mul_u32_u24_e32 v0, 3, v33
	v_lshlrev_b32_e32 v0, 3, v0
	global_load_dwordx4 v[37:40], v0, s[14:15] offset:288
	global_load_dwordx2 v[45:46], v0, s[14:15] offset:304
	global_load_dwordx4 v[41:44], v0, s[14:15] offset:672
	global_load_dwordx2 v[47:48], v0, s[14:15] offset:688
	v_lshl_add_u32 v0, v35, 3, v36
	v_cmp_gt_u32_e64 s[0:1], 40, v34
	s_waitcnt vmcnt(0) lgkmcnt(0)
	s_barrier
	v_mul_f32_e32 v35, v38, v12
	v_mul_f32_e32 v36, v38, v11
	;; [unrolled: 1-line block ×12, first 2 shown]
	v_fmac_f32_e32 v35, v37, v11
	v_fma_f32 v11, v37, v12, -v36
	v_fmac_f32_e32 v38, v39, v15
	v_fma_f32 v12, v39, v16, -v40
	v_fmac_f32_e32 v49, v45, v19
	v_fma_f32 v15, v45, v20, -v46
	v_fmac_f32_e32 v50, v41, v13
	v_fma_f32 v13, v41, v14, -v42
	v_fmac_f32_e32 v51, v43, v17
	v_fma_f32 v14, v43, v18, -v44
	v_fmac_f32_e32 v52, v47, v23
	v_fma_f32 v16, v47, v24, -v48
	v_sub_f32_e32 v17, v21, v38
	v_sub_f32_e32 v18, v22, v12
	;; [unrolled: 1-line block ×8, first 2 shown]
	v_fma_f32 v21, v21, 2.0, -v17
	v_fma_f32 v22, v22, 2.0, -v18
	;; [unrolled: 1-line block ×4, first 2 shown]
	v_add_f32_e32 v11, v17, v15
	v_sub_f32_e32 v12, v18, v12
	v_fma_f32 v35, v9, 2.0, -v19
	v_fma_f32 v36, v10, 2.0, -v20
	;; [unrolled: 1-line block ×4, first 2 shown]
	v_add_f32_e32 v9, v19, v16
	v_sub_f32_e32 v10, v20, v14
	v_sub_f32_e32 v13, v21, v23
	;; [unrolled: 1-line block ×3, first 2 shown]
	v_fma_f32 v15, v17, 2.0, -v11
	v_fma_f32 v16, v18, 2.0, -v12
	v_sub_f32_e32 v17, v35, v37
	v_sub_f32_e32 v18, v36, v38
	v_fma_f32 v19, v19, 2.0, -v9
	v_fma_f32 v20, v20, 2.0, -v10
	ds_write_b64 v32, v[11:12] offset:960
	v_fma_f32 v11, v21, 2.0, -v13
	v_fma_f32 v12, v22, 2.0, -v14
	;; [unrolled: 1-line block ×4, first 2 shown]
	ds_write2_b64 v32, v[15:16], v[13:14] offset0:40 offset1:80
	ds_write2_b64 v0, v[19:20], v[17:18] offset0:56 offset1:96
	ds_write2_b64 v32, v[11:12], v[21:22] offset1:16
	ds_write_b64 v0, v[9:10] offset:1088
	s_and_saveexec_b64 s[6:7], vcc
	s_cbranch_execz .LBB0_20
; %bb.19:
	v_add_u32_e32 v0, -8, v33
	v_cndmask_b32_e64 v0, v0, v34, s[0:1]
	v_mul_i32_i24_e32 v9, 3, v0
	v_mov_b32_e32 v10, 0
	v_lshlrev_b64 v[9:10], 3, v[9:10]
	v_mov_b32_e32 v0, s15
	v_add_co_u32_e32 v13, vcc, s14, v9
	v_addc_co_u32_e32 v14, vcc, v0, v10, vcc
	global_load_dwordx4 v[9:12], v[13:14], off offset:288
	global_load_dwordx2 v[15:16], v[13:14], off offset:304
	s_waitcnt vmcnt(1)
	v_mul_f32_e32 v0, v1, v12
	v_mul_f32_e32 v13, v8, v10
	s_waitcnt vmcnt(0)
	v_mul_f32_e32 v14, v4, v16
	v_mul_f32_e32 v12, v2, v12
	;; [unrolled: 1-line block ×4, first 2 shown]
	v_fma_f32 v0, v2, v11, -v0
	v_fmac_f32_e32 v13, v7, v9
	v_fmac_f32_e32 v14, v3, v15
	;; [unrolled: 1-line block ×3, first 2 shown]
	v_fma_f32 v2, v8, v9, -v10
	v_fma_f32 v1, v4, v15, -v16
	v_sub_f32_e32 v3, v6, v0
	v_sub_f32_e32 v4, v13, v14
	;; [unrolled: 1-line block ×5, first 2 shown]
	v_add_f32_e32 v0, v7, v8
	v_fma_f32 v6, v6, 2.0, -v3
	v_fma_f32 v8, v2, 2.0, -v8
	;; [unrolled: 1-line block ×4, first 2 shown]
	v_sub_f32_e32 v5, v6, v8
	v_sub_f32_e32 v4, v9, v4
	v_fma_f32 v3, v3, 2.0, -v1
	v_fma_f32 v2, v7, 2.0, -v0
	;; [unrolled: 1-line block ×4, first 2 shown]
	ds_write2_b64 v32, v[6:7], v[2:3] offset0:32 offset1:72
	ds_write2_b64 v32, v[4:5], v[0:1] offset0:112 offset1:152
.LBB0_20:
	s_or_b64 exec, exec, s[6:7]
	s_waitcnt lgkmcnt(0)
	s_barrier
	s_and_saveexec_b64 s[0:1], s[4:5]
	s_cbranch_execz .LBB0_22
; %bb.21:
	v_mad_u64_u32 v[4:5], s[0:1], s10, v30, 0
	v_mad_u64_u32 v[6:7], s[0:1], s8, v25, 0
	v_mov_b32_e32 v0, v5
	v_mad_u64_u32 v[0:1], s[0:1], s11, v30, v[0:1]
	v_mov_b32_e32 v1, v7
	v_mad_u64_u32 v[1:2], s[0:1], s9, v25, v[1:2]
	s_lshl_b64 s[0:1], s[2:3], 3
	s_add_u32 s2, s12, s0
	s_addc_u32 s0, s13, s1
	v_mov_b32_e32 v5, v0
	v_mov_b32_e32 v11, s0
	v_mad_u64_u32 v[8:9], s[0:1], s8, v29, 0
	v_lshlrev_b64 v[4:5], 3, v[4:5]
	v_mov_b32_e32 v7, v1
	v_mul_u32_u24_e32 v0, 0x500, v30
	v_add_co_u32_e32 v12, vcc, s2, v4
	v_add3_u32 v10, 0, v0, v31
	v_addc_co_u32_e32 v11, vcc, v11, v5, vcc
	v_lshlrev_b64 v[4:5], 3, v[6:7]
	v_mov_b32_e32 v6, v9
	ds_read2_b64 v[0:3], v10 offset1:16
	v_mad_u64_u32 v[6:7], s[0:1], s9, v29, v[6:7]
	v_add_co_u32_e32 v4, vcc, v12, v4
	v_addc_co_u32_e32 v5, vcc, v11, v5, vcc
	v_mov_b32_e32 v9, v6
	s_waitcnt lgkmcnt(0)
	global_store_dwordx2 v[4:5], v[0:1], off
	v_lshlrev_b64 v[0:1], 3, v[8:9]
	v_mad_u64_u32 v[4:5], s[0:1], s8, v28, 0
	v_add_co_u32_e32 v0, vcc, v12, v0
	v_addc_co_u32_e32 v1, vcc, v11, v1, vcc
	global_store_dwordx2 v[0:1], v[2:3], off
	v_mov_b32_e32 v0, v5
	v_mad_u64_u32 v[0:1], s[0:1], s9, v28, v[0:1]
	v_mad_u64_u32 v[6:7], s[0:1], s8, v27, 0
	v_mov_b32_e32 v5, v0
	ds_read2_b64 v[0:3], v10 offset0:32 offset1:48
	v_lshlrev_b64 v[4:5], 3, v[4:5]
	v_mad_u64_u32 v[7:8], s[0:1], s9, v27, v[7:8]
	v_add_co_u32_e32 v4, vcc, v12, v4
	v_addc_co_u32_e32 v5, vcc, v11, v5, vcc
	s_waitcnt lgkmcnt(0)
	global_store_dwordx2 v[4:5], v[0:1], off
	v_lshlrev_b64 v[0:1], 3, v[6:7]
	v_mad_u64_u32 v[4:5], s[0:1], s8, v26, 0
	v_add_co_u32_e32 v0, vcc, v12, v0
	v_addc_co_u32_e32 v1, vcc, v11, v1, vcc
	global_store_dwordx2 v[0:1], v[2:3], off
	v_mov_b32_e32 v0, v5
	v_mad_u64_u32 v[0:1], s[0:1], s9, v26, v[0:1]
	v_add_u32_e32 v8, 0x50, v25
	v_mad_u64_u32 v[6:7], s[0:1], s8, v8, 0
	v_mov_b32_e32 v5, v0
	ds_read2_b64 v[0:3], v10 offset0:64 offset1:80
	v_lshlrev_b64 v[4:5], 3, v[4:5]
	v_mad_u64_u32 v[7:8], s[0:1], s9, v8, v[7:8]
	v_add_co_u32_e32 v4, vcc, v12, v4
	v_addc_co_u32_e32 v5, vcc, v11, v5, vcc
	s_waitcnt lgkmcnt(0)
	global_store_dwordx2 v[4:5], v[0:1], off
	v_lshlrev_b64 v[0:1], 3, v[6:7]
	v_or_b32_e32 v6, 0x60, v25
	v_mad_u64_u32 v[4:5], s[0:1], s8, v6, 0
	v_add_co_u32_e32 v0, vcc, v12, v0
	v_addc_co_u32_e32 v1, vcc, v11, v1, vcc
	global_store_dwordx2 v[0:1], v[2:3], off
	v_mov_b32_e32 v0, v5
	v_mad_u64_u32 v[0:1], s[0:1], s9, v6, v[0:1]
	v_add_u32_e32 v8, 0x70, v25
	v_mad_u64_u32 v[6:7], s[0:1], s8, v8, 0
	v_mov_b32_e32 v5, v0
	ds_read2_b64 v[0:3], v10 offset0:96 offset1:112
	v_lshlrev_b64 v[4:5], 3, v[4:5]
	v_mad_u64_u32 v[7:8], s[0:1], s9, v8, v[7:8]
	v_add_co_u32_e32 v4, vcc, v12, v4
	v_addc_co_u32_e32 v5, vcc, v11, v5, vcc
	s_waitcnt lgkmcnt(0)
	global_store_dwordx2 v[4:5], v[0:1], off
	v_lshlrev_b64 v[0:1], 3, v[6:7]
	v_or_b32_e32 v6, 0x80, v25
	v_mad_u64_u32 v[4:5], s[0:1], s8, v6, 0
	v_add_co_u32_e32 v0, vcc, v12, v0
	v_addc_co_u32_e32 v1, vcc, v11, v1, vcc
	global_store_dwordx2 v[0:1], v[2:3], off
	v_mov_b32_e32 v0, v5
	v_mad_u64_u32 v[0:1], s[0:1], s9, v6, v[0:1]
	v_add_u32_e32 v8, 0x90, v25
	v_mad_u64_u32 v[6:7], s[0:1], s8, v8, 0
	v_mov_b32_e32 v5, v0
	ds_read2_b64 v[0:3], v10 offset0:128 offset1:144
	v_lshlrev_b64 v[4:5], 3, v[4:5]
	v_mad_u64_u32 v[7:8], s[0:1], s9, v8, v[7:8]
	v_add_co_u32_e32 v4, vcc, v12, v4
	v_addc_co_u32_e32 v5, vcc, v11, v5, vcc
	s_waitcnt lgkmcnt(0)
	global_store_dwordx2 v[4:5], v[0:1], off
	v_lshlrev_b64 v[0:1], 3, v[6:7]
	v_add_co_u32_e32 v0, vcc, v12, v0
	v_addc_co_u32_e32 v1, vcc, v11, v1, vcc
	global_store_dwordx2 v[0:1], v[2:3], off
.LBB0_22:
	s_endpgm
	.section	.rodata,"a",@progbits
	.p2align	6, 0x0
	.amdhsa_kernel fft_rtc_back_len160_factors_4_10_4_wgs_192_tpt_16_sp_ip_CI_sbcc
		.amdhsa_group_segment_fixed_size 0
		.amdhsa_private_segment_fixed_size 0
		.amdhsa_kernarg_size 96
		.amdhsa_user_sgpr_count 6
		.amdhsa_user_sgpr_private_segment_buffer 1
		.amdhsa_user_sgpr_dispatch_ptr 0
		.amdhsa_user_sgpr_queue_ptr 0
		.amdhsa_user_sgpr_kernarg_segment_ptr 1
		.amdhsa_user_sgpr_dispatch_id 0
		.amdhsa_user_sgpr_flat_scratch_init 0
		.amdhsa_user_sgpr_private_segment_size 0
		.amdhsa_uses_dynamic_stack 0
		.amdhsa_system_sgpr_private_segment_wavefront_offset 0
		.amdhsa_system_sgpr_workgroup_id_x 1
		.amdhsa_system_sgpr_workgroup_id_y 0
		.amdhsa_system_sgpr_workgroup_id_z 0
		.amdhsa_system_sgpr_workgroup_info 0
		.amdhsa_system_vgpr_workitem_id 0
		.amdhsa_next_free_vgpr 53
		.amdhsa_next_free_sgpr 43
		.amdhsa_reserve_vcc 1
		.amdhsa_reserve_flat_scratch 0
		.amdhsa_float_round_mode_32 0
		.amdhsa_float_round_mode_16_64 0
		.amdhsa_float_denorm_mode_32 3
		.amdhsa_float_denorm_mode_16_64 3
		.amdhsa_dx10_clamp 1
		.amdhsa_ieee_mode 1
		.amdhsa_fp16_overflow 0
		.amdhsa_exception_fp_ieee_invalid_op 0
		.amdhsa_exception_fp_denorm_src 0
		.amdhsa_exception_fp_ieee_div_zero 0
		.amdhsa_exception_fp_ieee_overflow 0
		.amdhsa_exception_fp_ieee_underflow 0
		.amdhsa_exception_fp_ieee_inexact 0
		.amdhsa_exception_int_div_zero 0
	.end_amdhsa_kernel
	.text
.Lfunc_end0:
	.size	fft_rtc_back_len160_factors_4_10_4_wgs_192_tpt_16_sp_ip_CI_sbcc, .Lfunc_end0-fft_rtc_back_len160_factors_4_10_4_wgs_192_tpt_16_sp_ip_CI_sbcc
                                        ; -- End function
	.section	.AMDGPU.csdata,"",@progbits
; Kernel info:
; codeLenInByte = 5688
; NumSgprs: 47
; NumVgprs: 53
; ScratchSize: 0
; MemoryBound: 0
; FloatMode: 240
; IeeeMode: 1
; LDSByteSize: 0 bytes/workgroup (compile time only)
; SGPRBlocks: 5
; VGPRBlocks: 13
; NumSGPRsForWavesPerEU: 47
; NumVGPRsForWavesPerEU: 53
; Occupancy: 4
; WaveLimiterHint : 1
; COMPUTE_PGM_RSRC2:SCRATCH_EN: 0
; COMPUTE_PGM_RSRC2:USER_SGPR: 6
; COMPUTE_PGM_RSRC2:TRAP_HANDLER: 0
; COMPUTE_PGM_RSRC2:TGID_X_EN: 1
; COMPUTE_PGM_RSRC2:TGID_Y_EN: 0
; COMPUTE_PGM_RSRC2:TGID_Z_EN: 0
; COMPUTE_PGM_RSRC2:TIDIG_COMP_CNT: 0
	.type	__hip_cuid_86de1b81f67fbcc7,@object ; @__hip_cuid_86de1b81f67fbcc7
	.section	.bss,"aw",@nobits
	.globl	__hip_cuid_86de1b81f67fbcc7
__hip_cuid_86de1b81f67fbcc7:
	.byte	0                               ; 0x0
	.size	__hip_cuid_86de1b81f67fbcc7, 1

	.ident	"AMD clang version 19.0.0git (https://github.com/RadeonOpenCompute/llvm-project roc-6.4.0 25133 c7fe45cf4b819c5991fe208aaa96edf142730f1d)"
	.section	".note.GNU-stack","",@progbits
	.addrsig
	.addrsig_sym __hip_cuid_86de1b81f67fbcc7
	.amdgpu_metadata
---
amdhsa.kernels:
  - .args:
      - .actual_access:  read_only
        .address_space:  global
        .offset:         0
        .size:           8
        .value_kind:     global_buffer
      - .address_space:  global
        .offset:         8
        .size:           8
        .value_kind:     global_buffer
      - .offset:         16
        .size:           8
        .value_kind:     by_value
      - .actual_access:  read_only
        .address_space:  global
        .offset:         24
        .size:           8
        .value_kind:     global_buffer
      - .actual_access:  read_only
        .address_space:  global
        .offset:         32
        .size:           8
        .value_kind:     global_buffer
      - .offset:         40
        .size:           8
        .value_kind:     by_value
      - .actual_access:  read_only
        .address_space:  global
        .offset:         48
        .size:           8
        .value_kind:     global_buffer
      - .actual_access:  read_only
        .address_space:  global
        .offset:         56
        .size:           8
        .value_kind:     global_buffer
      - .offset:         64
        .size:           4
        .value_kind:     by_value
      - .actual_access:  read_only
        .address_space:  global
        .offset:         72
        .size:           8
        .value_kind:     global_buffer
      - .actual_access:  read_only
        .address_space:  global
        .offset:         80
        .size:           8
        .value_kind:     global_buffer
      - .address_space:  global
        .offset:         88
        .size:           8
        .value_kind:     global_buffer
    .group_segment_fixed_size: 0
    .kernarg_segment_align: 8
    .kernarg_segment_size: 96
    .language:       OpenCL C
    .language_version:
      - 2
      - 0
    .max_flat_workgroup_size: 192
    .name:           fft_rtc_back_len160_factors_4_10_4_wgs_192_tpt_16_sp_ip_CI_sbcc
    .private_segment_fixed_size: 0
    .sgpr_count:     47
    .sgpr_spill_count: 0
    .symbol:         fft_rtc_back_len160_factors_4_10_4_wgs_192_tpt_16_sp_ip_CI_sbcc.kd
    .uniform_work_group_size: 1
    .uses_dynamic_stack: false
    .vgpr_count:     53
    .vgpr_spill_count: 0
    .wavefront_size: 64
amdhsa.target:   amdgcn-amd-amdhsa--gfx906
amdhsa.version:
  - 1
  - 2
...

	.end_amdgpu_metadata
